;; amdgpu-corpus repo=ROCm/rocFFT kind=compiled arch=gfx1030 opt=O3
	.text
	.amdgcn_target "amdgcn-amd-amdhsa--gfx1030"
	.amdhsa_code_object_version 6
	.protected	fft_rtc_back_len1300_factors_10_10_13_wgs_130_tpt_130_dp_op_CI_CI_unitstride_sbrr_dirReg ; -- Begin function fft_rtc_back_len1300_factors_10_10_13_wgs_130_tpt_130_dp_op_CI_CI_unitstride_sbrr_dirReg
	.globl	fft_rtc_back_len1300_factors_10_10_13_wgs_130_tpt_130_dp_op_CI_CI_unitstride_sbrr_dirReg
	.p2align	8
	.type	fft_rtc_back_len1300_factors_10_10_13_wgs_130_tpt_130_dp_op_CI_CI_unitstride_sbrr_dirReg,@function
fft_rtc_back_len1300_factors_10_10_13_wgs_130_tpt_130_dp_op_CI_CI_unitstride_sbrr_dirReg: ; @fft_rtc_back_len1300_factors_10_10_13_wgs_130_tpt_130_dp_op_CI_CI_unitstride_sbrr_dirReg
; %bb.0:
	s_clause 0x2
	s_load_dwordx4 s[12:15], s[4:5], 0x0
	s_load_dwordx4 s[8:11], s[4:5], 0x58
	;; [unrolled: 1-line block ×3, first 2 shown]
	v_mul_u32_u24_e32 v2, 0x1f9, v0
	v_mov_b32_e32 v1, 0
	v_mov_b32_e32 v4, 0
	;; [unrolled: 1-line block ×3, first 2 shown]
	v_add_nc_u32_sdwa v6, s6, v2 dst_sel:DWORD dst_unused:UNUSED_PAD src0_sel:DWORD src1_sel:WORD_1
	v_mov_b32_e32 v7, v1
	s_waitcnt lgkmcnt(0)
	v_cmp_lt_u64_e64 s0, s[14:15], 2
	s_and_b32 vcc_lo, exec_lo, s0
	s_cbranch_vccnz .LBB0_8
; %bb.1:
	s_load_dwordx2 s[0:1], s[4:5], 0x10
	v_mov_b32_e32 v4, 0
	v_mov_b32_e32 v5, 0
	s_add_u32 s2, s18, 8
	s_addc_u32 s3, s19, 0
	s_add_u32 s6, s16, 8
	s_addc_u32 s7, s17, 0
	v_mov_b32_e32 v53, v5
	v_mov_b32_e32 v52, v4
	s_mov_b64 s[22:23], 1
	s_waitcnt lgkmcnt(0)
	s_add_u32 s20, s0, 8
	s_addc_u32 s21, s1, 0
.LBB0_2:                                ; =>This Inner Loop Header: Depth=1
	s_load_dwordx2 s[24:25], s[20:21], 0x0
                                        ; implicit-def: $vgpr54_vgpr55
	s_mov_b32 s0, exec_lo
	s_waitcnt lgkmcnt(0)
	v_or_b32_e32 v2, s25, v7
	v_cmpx_ne_u64_e32 0, v[1:2]
	s_xor_b32 s1, exec_lo, s0
	s_cbranch_execz .LBB0_4
; %bb.3:                                ;   in Loop: Header=BB0_2 Depth=1
	v_cvt_f32_u32_e32 v2, s24
	v_cvt_f32_u32_e32 v3, s25
	s_sub_u32 s0, 0, s24
	s_subb_u32 s26, 0, s25
	v_fmac_f32_e32 v2, 0x4f800000, v3
	v_rcp_f32_e32 v2, v2
	v_mul_f32_e32 v2, 0x5f7ffffc, v2
	v_mul_f32_e32 v3, 0x2f800000, v2
	v_trunc_f32_e32 v3, v3
	v_fmac_f32_e32 v2, 0xcf800000, v3
	v_cvt_u32_f32_e32 v3, v3
	v_cvt_u32_f32_e32 v2, v2
	v_mul_lo_u32 v8, s0, v3
	v_mul_hi_u32 v9, s0, v2
	v_mul_lo_u32 v10, s26, v2
	v_add_nc_u32_e32 v8, v9, v8
	v_mul_lo_u32 v9, s0, v2
	v_add_nc_u32_e32 v8, v8, v10
	v_mul_hi_u32 v10, v2, v9
	v_mul_lo_u32 v11, v2, v8
	v_mul_hi_u32 v12, v2, v8
	v_mul_hi_u32 v13, v3, v9
	v_mul_lo_u32 v9, v3, v9
	v_mul_hi_u32 v14, v3, v8
	v_mul_lo_u32 v8, v3, v8
	v_add_co_u32 v10, vcc_lo, v10, v11
	v_add_co_ci_u32_e32 v11, vcc_lo, 0, v12, vcc_lo
	v_add_co_u32 v9, vcc_lo, v10, v9
	v_add_co_ci_u32_e32 v9, vcc_lo, v11, v13, vcc_lo
	v_add_co_ci_u32_e32 v10, vcc_lo, 0, v14, vcc_lo
	v_add_co_u32 v8, vcc_lo, v9, v8
	v_add_co_ci_u32_e32 v9, vcc_lo, 0, v10, vcc_lo
	v_add_co_u32 v2, vcc_lo, v2, v8
	v_add_co_ci_u32_e32 v3, vcc_lo, v3, v9, vcc_lo
	v_mul_hi_u32 v8, s0, v2
	v_mul_lo_u32 v10, s26, v2
	v_mul_lo_u32 v9, s0, v3
	v_add_nc_u32_e32 v8, v8, v9
	v_mul_lo_u32 v9, s0, v2
	v_add_nc_u32_e32 v8, v8, v10
	v_mul_hi_u32 v10, v2, v9
	v_mul_lo_u32 v11, v2, v8
	v_mul_hi_u32 v12, v2, v8
	v_mul_hi_u32 v13, v3, v9
	v_mul_lo_u32 v9, v3, v9
	v_mul_hi_u32 v14, v3, v8
	v_mul_lo_u32 v8, v3, v8
	v_add_co_u32 v10, vcc_lo, v10, v11
	v_add_co_ci_u32_e32 v11, vcc_lo, 0, v12, vcc_lo
	v_add_co_u32 v9, vcc_lo, v10, v9
	v_add_co_ci_u32_e32 v9, vcc_lo, v11, v13, vcc_lo
	v_add_co_ci_u32_e32 v10, vcc_lo, 0, v14, vcc_lo
	v_add_co_u32 v8, vcc_lo, v9, v8
	v_add_co_ci_u32_e32 v9, vcc_lo, 0, v10, vcc_lo
	v_add_co_u32 v8, vcc_lo, v2, v8
	v_add_co_ci_u32_e32 v10, vcc_lo, v3, v9, vcc_lo
	v_mul_hi_u32 v12, v6, v8
	v_mad_u64_u32 v[8:9], null, v7, v8, 0
	v_mad_u64_u32 v[2:3], null, v6, v10, 0
	;; [unrolled: 1-line block ×3, first 2 shown]
	v_add_co_u32 v2, vcc_lo, v12, v2
	v_add_co_ci_u32_e32 v3, vcc_lo, 0, v3, vcc_lo
	v_add_co_u32 v2, vcc_lo, v2, v8
	v_add_co_ci_u32_e32 v2, vcc_lo, v3, v9, vcc_lo
	v_add_co_ci_u32_e32 v3, vcc_lo, 0, v11, vcc_lo
	v_add_co_u32 v8, vcc_lo, v2, v10
	v_add_co_ci_u32_e32 v9, vcc_lo, 0, v3, vcc_lo
	v_mul_lo_u32 v10, s25, v8
	v_mad_u64_u32 v[2:3], null, s24, v8, 0
	v_mul_lo_u32 v11, s24, v9
	v_sub_co_u32 v2, vcc_lo, v6, v2
	v_add3_u32 v3, v3, v11, v10
	v_sub_nc_u32_e32 v10, v7, v3
	v_subrev_co_ci_u32_e64 v10, s0, s25, v10, vcc_lo
	v_add_co_u32 v11, s0, v8, 2
	v_add_co_ci_u32_e64 v12, s0, 0, v9, s0
	v_sub_co_u32 v13, s0, v2, s24
	v_sub_co_ci_u32_e32 v3, vcc_lo, v7, v3, vcc_lo
	v_subrev_co_ci_u32_e64 v10, s0, 0, v10, s0
	v_cmp_le_u32_e32 vcc_lo, s24, v13
	v_cmp_eq_u32_e64 s0, s25, v3
	v_cndmask_b32_e64 v13, 0, -1, vcc_lo
	v_cmp_le_u32_e32 vcc_lo, s25, v10
	v_cndmask_b32_e64 v14, 0, -1, vcc_lo
	v_cmp_le_u32_e32 vcc_lo, s24, v2
	;; [unrolled: 2-line block ×3, first 2 shown]
	v_cndmask_b32_e64 v15, 0, -1, vcc_lo
	v_cmp_eq_u32_e32 vcc_lo, s25, v10
	v_cndmask_b32_e64 v2, v15, v2, s0
	v_cndmask_b32_e32 v10, v14, v13, vcc_lo
	v_add_co_u32 v13, vcc_lo, v8, 1
	v_add_co_ci_u32_e32 v14, vcc_lo, 0, v9, vcc_lo
	v_cmp_ne_u32_e32 vcc_lo, 0, v10
	v_cndmask_b32_e32 v3, v14, v12, vcc_lo
	v_cndmask_b32_e32 v10, v13, v11, vcc_lo
	v_cmp_ne_u32_e32 vcc_lo, 0, v2
	v_cndmask_b32_e32 v55, v9, v3, vcc_lo
	v_cndmask_b32_e32 v54, v8, v10, vcc_lo
.LBB0_4:                                ;   in Loop: Header=BB0_2 Depth=1
	s_andn2_saveexec_b32 s0, s1
	s_cbranch_execz .LBB0_6
; %bb.5:                                ;   in Loop: Header=BB0_2 Depth=1
	v_cvt_f32_u32_e32 v2, s24
	s_sub_i32 s1, 0, s24
	v_mov_b32_e32 v55, v1
	v_rcp_iflag_f32_e32 v2, v2
	v_mul_f32_e32 v2, 0x4f7ffffe, v2
	v_cvt_u32_f32_e32 v2, v2
	v_mul_lo_u32 v3, s1, v2
	v_mul_hi_u32 v3, v2, v3
	v_add_nc_u32_e32 v2, v2, v3
	v_mul_hi_u32 v2, v6, v2
	v_mul_lo_u32 v3, v2, s24
	v_add_nc_u32_e32 v8, 1, v2
	v_sub_nc_u32_e32 v3, v6, v3
	v_subrev_nc_u32_e32 v9, s24, v3
	v_cmp_le_u32_e32 vcc_lo, s24, v3
	v_cndmask_b32_e32 v3, v3, v9, vcc_lo
	v_cndmask_b32_e32 v2, v2, v8, vcc_lo
	v_cmp_le_u32_e32 vcc_lo, s24, v3
	v_add_nc_u32_e32 v8, 1, v2
	v_cndmask_b32_e32 v54, v2, v8, vcc_lo
.LBB0_6:                                ;   in Loop: Header=BB0_2 Depth=1
	s_or_b32 exec_lo, exec_lo, s0
	v_mul_lo_u32 v8, v55, s24
	v_mul_lo_u32 v9, v54, s25
	s_load_dwordx2 s[0:1], s[6:7], 0x0
	v_mad_u64_u32 v[2:3], null, v54, s24, 0
	s_load_dwordx2 s[24:25], s[2:3], 0x0
	s_add_u32 s22, s22, 1
	s_addc_u32 s23, s23, 0
	s_add_u32 s2, s2, 8
	s_addc_u32 s3, s3, 0
	s_add_u32 s6, s6, 8
	v_add3_u32 v3, v3, v9, v8
	v_sub_co_u32 v2, vcc_lo, v6, v2
	s_addc_u32 s7, s7, 0
	s_add_u32 s20, s20, 8
	v_sub_co_ci_u32_e32 v3, vcc_lo, v7, v3, vcc_lo
	s_addc_u32 s21, s21, 0
	s_waitcnt lgkmcnt(0)
	v_mul_lo_u32 v6, s0, v3
	v_mul_lo_u32 v7, s1, v2
	v_mad_u64_u32 v[4:5], null, s0, v2, v[4:5]
	v_mul_lo_u32 v3, s24, v3
	v_mul_lo_u32 v8, s25, v2
	v_mad_u64_u32 v[52:53], null, s24, v2, v[52:53]
	v_cmp_ge_u64_e64 s0, s[22:23], s[14:15]
	v_add3_u32 v5, v7, v5, v6
	v_add3_u32 v53, v8, v53, v3
	s_and_b32 vcc_lo, exec_lo, s0
	s_cbranch_vccnz .LBB0_9
; %bb.7:                                ;   in Loop: Header=BB0_2 Depth=1
	v_mov_b32_e32 v6, v54
	v_mov_b32_e32 v7, v55
	s_branch .LBB0_2
.LBB0_8:
	v_mov_b32_e32 v53, v5
	v_mov_b32_e32 v55, v7
	;; [unrolled: 1-line block ×4, first 2 shown]
.LBB0_9:
	s_load_dwordx2 s[0:1], s[4:5], 0x28
	v_mul_hi_u32 v1, 0x1f81f82, v0
	s_lshl_b64 s[4:5], s[14:15], 3
                                        ; implicit-def: $vgpr56
	s_add_u32 s2, s18, s4
	s_addc_u32 s3, s19, s5
	s_waitcnt lgkmcnt(0)
	v_cmp_gt_u64_e32 vcc_lo, s[0:1], v[54:55]
	v_cmp_le_u64_e64 s0, s[0:1], v[54:55]
	s_and_saveexec_b32 s1, s0
	s_xor_b32 s0, exec_lo, s1
; %bb.10:
	v_mul_u32_u24_e32 v1, 0x82, v1
                                        ; implicit-def: $vgpr4_vgpr5
	v_sub_nc_u32_e32 v56, v0, v1
                                        ; implicit-def: $vgpr1
                                        ; implicit-def: $vgpr0
; %bb.11:
	s_or_saveexec_b32 s1, s0
                                        ; implicit-def: $vgpr2_vgpr3
                                        ; implicit-def: $vgpr6_vgpr7
                                        ; implicit-def: $vgpr10_vgpr11
                                        ; implicit-def: $vgpr14_vgpr15
                                        ; implicit-def: $vgpr22_vgpr23
                                        ; implicit-def: $vgpr26_vgpr27
                                        ; implicit-def: $vgpr30_vgpr31
                                        ; implicit-def: $vgpr38_vgpr39
                                        ; implicit-def: $vgpr34_vgpr35
                                        ; implicit-def: $vgpr18_vgpr19
	s_xor_b32 exec_lo, exec_lo, s1
	s_cbranch_execz .LBB0_13
; %bb.12:
	s_add_u32 s4, s16, s4
	s_addc_u32 s5, s17, s5
	s_load_dwordx2 s[4:5], s[4:5], 0x0
	s_waitcnt lgkmcnt(0)
	v_mul_lo_u32 v6, s5, v54
	v_mul_lo_u32 v7, s4, v55
	v_mad_u64_u32 v[2:3], null, s4, v54, 0
	v_add3_u32 v3, v3, v7, v6
	v_mul_u32_u24_e32 v6, 0x82, v1
	v_lshlrev_b64 v[1:2], 4, v[2:3]
	v_lshlrev_b64 v[3:4], 4, v[4:5]
	v_sub_nc_u32_e32 v56, v0, v6
	v_add_co_u32 v0, s0, s8, v1
	v_add_co_ci_u32_e64 v1, s0, s9, v2, s0
	v_lshlrev_b32_e32 v2, 4, v56
	v_add_co_u32 v0, s0, v0, v3
	v_add_co_ci_u32_e64 v1, s0, v1, v4, s0
	v_add_co_u32 v0, s0, v0, v2
	v_add_co_ci_u32_e64 v1, s0, 0, v1, s0
	;; [unrolled: 2-line block ×10, first 2 shown]
	s_clause 0x3
	global_load_dwordx4 v[16:19], v[0:1], off
	global_load_dwordx4 v[32:35], v[2:3], off offset:32
	global_load_dwordx4 v[36:39], v[4:5], off offset:64
	;; [unrolled: 1-line block ×3, first 2 shown]
	v_add_co_u32 v0, s0, 0x4800, v0
	v_add_co_ci_u32_e64 v1, s0, 0, v1, s0
	s_clause 0x5
	global_load_dwordx4 v[24:27], v[8:9], off offset:128
	global_load_dwordx4 v[20:23], v[10:11], off offset:160
	global_load_dwordx4 v[12:15], v[12:13], off offset:192
	global_load_dwordx4 v[8:11], v[40:41], off offset:224
	global_load_dwordx4 v[4:7], v[42:43], off offset:256
	global_load_dwordx4 v[0:3], v[0:1], off offset:288
.LBB0_13:
	s_or_b32 exec_lo, exec_lo, s1
	s_waitcnt vmcnt(2)
	v_add_f64 v[40:41], v[10:11], v[22:23]
	v_add_f64 v[65:66], v[8:9], v[20:21]
	s_waitcnt vmcnt(0)
	v_add_f64 v[46:47], v[2:3], v[30:31]
	v_add_f64 v[67:68], v[0:1], v[28:29]
	v_add_f64 v[83:84], v[28:29], -v[0:1]
	v_add_f64 v[95:96], v[30:31], -v[2:3]
	;; [unrolled: 1-line block ×3, first 2 shown]
	v_add_f64 v[89:90], v[28:29], v[32:33]
	v_add_f64 v[97:98], v[22:23], -v[10:11]
	s_mov_b32 s14, 0x134454ff
	s_mov_b32 s15, 0xbfee6f0e
	;; [unrolled: 1-line block ×4, first 2 shown]
	v_add_f64 v[42:43], v[36:37], v[16:17]
	v_add_f64 v[48:49], v[12:13], v[24:25]
	;; [unrolled: 1-line block ×5, first 2 shown]
	v_add_f64 v[91:92], v[28:29], -v[20:21]
	v_add_f64 v[93:94], v[0:1], -v[8:9]
	;; [unrolled: 1-line block ×3, first 2 shown]
	v_add_f64 v[44:45], v[38:39], v[18:19]
	v_fma_f64 v[40:41], v[40:41], -0.5, v[34:35]
	v_fma_f64 v[65:66], v[65:66], -0.5, v[32:33]
	;; [unrolled: 1-line block ×4, first 2 shown]
	v_add_f64 v[34:35], v[30:31], v[34:35]
	v_add_f64 v[67:68], v[30:31], -v[22:23]
	v_add_f64 v[63:64], v[36:37], -v[24:25]
	;; [unrolled: 1-line block ×9, first 2 shown]
	s_mov_b32 s6, 0x4755a5e
	s_mov_b32 s7, 0xbfe2cf23
	;; [unrolled: 1-line block ×4, first 2 shown]
	v_add_f64 v[61:62], v[38:39], -v[6:7]
	v_add_f64 v[36:37], v[36:37], -v[4:5]
	;; [unrolled: 1-line block ×3, first 2 shown]
	v_fma_f64 v[48:49], v[48:49], -0.5, v[16:17]
	v_fma_f64 v[101:102], v[83:84], s[0:1], v[40:41]
	v_fma_f64 v[109:110], v[95:96], s[14:15], v[65:66]
	;; [unrolled: 1-line block ×6, first 2 shown]
	v_add_f64 v[24:25], v[24:25], v[42:43]
	v_fma_f64 v[16:17], v[50:51], -0.5, v[16:17]
	v_fma_f64 v[42:43], v[57:58], -0.5, v[18:19]
	;; [unrolled: 1-line block ×3, first 2 shown]
	v_add_f64 v[50:51], v[99:100], v[67:68]
	v_fma_f64 v[57:58], v[95:96], s[0:1], v[65:66]
	v_fma_f64 v[32:33], v[97:98], s[14:15], v[32:33]
	v_add_f64 v[67:68], v[93:94], v[91:92]
	v_add_f64 v[20:21], v[20:21], v[89:90]
	;; [unrolled: 1-line block ×3, first 2 shown]
	v_add_f64 v[71:72], v[38:39], -v[26:27]
	v_add_f64 v[38:39], v[26:27], -v[38:39]
	;; [unrolled: 1-line block ×3, first 2 shown]
	v_add_f64 v[26:27], v[26:27], v[44:45]
	v_add_f64 v[44:45], v[77:78], v[63:64]
	;; [unrolled: 1-line block ×3, first 2 shown]
	v_fma_f64 v[59:60], v[87:88], s[4:5], v[101:102]
	v_fma_f64 v[34:35], v[97:98], s[6:7], v[109:110]
	v_add_f64 v[30:31], v[103:104], v[30:31]
	v_fma_f64 v[65:66], v[83:84], s[4:5], v[105:106]
	v_fma_f64 v[46:47], v[83:84], s[6:7], v[46:47]
	;; [unrolled: 1-line block ×3, first 2 shown]
	v_add_f64 v[28:29], v[107:108], v[28:29]
	v_fma_f64 v[69:70], v[95:96], s[6:7], v[111:112]
	s_mov_b32 s8, 0x372fe950
	s_mov_b32 s9, 0x3fd3c6ef
	v_add_f64 v[81:82], v[6:7], -v[14:15]
	v_fma_f64 v[77:78], v[61:62], s[14:15], v[48:49]
	v_fma_f64 v[48:49], v[61:62], s[0:1], v[48:49]
	;; [unrolled: 1-line block ×7, first 2 shown]
	v_add_f64 v[8:9], v[8:9], v[20:21]
	v_add_f64 v[85:86], v[14:15], -v[6:7]
	v_fma_f64 v[79:80], v[73:74], s[0:1], v[16:17]
	v_fma_f64 v[16:17], v[73:74], s[14:15], v[16:17]
	;; [unrolled: 1-line block ×4, first 2 shown]
	v_add_f64 v[12:13], v[12:13], v[24:25]
	v_fma_f64 v[65:66], v[30:31], s[8:9], v[65:66]
	v_fma_f64 v[30:31], v[30:31], s[8:9], v[46:47]
	;; [unrolled: 1-line block ×3, first 2 shown]
	v_add_f64 v[10:11], v[10:11], v[22:23]
	v_fma_f64 v[22:23], v[28:29], s[8:9], v[69:70]
	v_fma_f64 v[42:43], v[36:37], s[14:15], v[42:43]
	v_add_f64 v[14:15], v[14:15], v[26:27]
	v_add_f64 v[71:72], v[81:82], v[71:72]
	v_fma_f64 v[26:27], v[73:74], s[6:7], v[77:78]
	v_fma_f64 v[34:35], v[73:74], s[4:5], v[48:49]
	;; [unrolled: 1-line block ×7, first 2 shown]
	s_mov_b32 s16, 0x9b97f4a8
	s_mov_b32 s19, 0xbfd3c6ef
	;; [unrolled: 1-line block ×3, first 2 shown]
	v_add_f64 v[38:39], v[85:86], v[38:39]
	v_mul_f64 v[32:33], v[59:60], s[6:7]
	v_mul_f64 v[67:68], v[20:21], s[4:5]
	v_fma_f64 v[40:41], v[61:62], s[6:7], v[79:80]
	v_fma_f64 v[16:17], v[61:62], s[4:5], v[16:17]
	s_mov_b32 s17, 0x3fe9e377
	v_mul_f64 v[50:51], v[65:66], s[14:15]
	v_mul_f64 v[57:58], v[30:31], s[14:15]
	;; [unrolled: 1-line block ×3, first 2 shown]
	s_mov_b32 s21, 0xbfe9e377
	s_mov_b32 s20, s16
	v_mul_f64 v[69:70], v[22:23], s[0:1]
	v_mul_f64 v[30:31], v[30:31], s[18:19]
	v_fma_f64 v[42:43], v[75:76], s[6:7], v[42:43]
	v_mul_f64 v[24:25], v[24:25], s[20:21]
	v_add_f64 v[4:5], v[4:5], v[12:13]
	v_add_f64 v[6:7], v[6:7], v[14:15]
	;; [unrolled: 1-line block ×4, first 2 shown]
	v_fma_f64 v[12:13], v[44:45], s[8:9], v[26:27]
	v_fma_f64 v[46:47], v[71:72], s[8:9], v[46:47]
	;; [unrolled: 1-line block ×12, first 2 shown]
	v_and_b32_e32 v14, 0xff, v56
	s_load_dwordx2 s[2:3], s[2:3], 0x0
	v_fma_f64 v[61:62], v[65:66], s[8:9], v[69:70]
	v_fma_f64 v[65:66], v[28:29], s[0:1], v[30:31]
	;; [unrolled: 1-line block ×4, first 2 shown]
	v_add_f64 v[0:1], v[8:9], v[4:5]
	v_add_f64 v[2:3], v[10:11], v[6:7]
	v_add_f64 v[4:5], v[4:5], -v[8:9]
	v_add_f64 v[6:7], v[6:7], -v[10:11]
	v_add_f64 v[8:9], v[12:13], v[32:33]
	v_add_f64 v[10:11], v[46:47], v[59:60]
	v_add_f64 v[27:28], v[12:13], -v[32:33]
	v_mul_lo_u16 v12, 0xcd, v14
	v_add_f64 v[29:30], v[46:47], -v[59:60]
	v_add_f64 v[15:16], v[34:35], v[38:39]
	v_add_f64 v[19:20], v[40:41], v[50:51]
	;; [unrolled: 1-line block ×3, first 2 shown]
	v_add_f64 v[31:32], v[34:35], -v[38:39]
	v_lshrrev_b16 v13, 11, v12
	v_add_f64 v[17:18], v[48:49], v[61:62]
	v_add_f64 v[21:22], v[63:64], v[65:66]
	v_add_f64 v[33:34], v[48:49], -v[61:62]
	v_add_f64 v[25:26], v[42:43], v[67:68]
	v_add_f64 v[35:36], v[40:41], -v[50:51]
	v_add_f64 v[37:38], v[63:64], -v[65:66]
	;; [unrolled: 1-line block ×4, first 2 shown]
	v_mul_u32_u24_e32 v12, 10, v56
	v_mul_lo_u16 v14, v13, 10
	v_mov_b32_e32 v43, 9
	v_lshl_add_u32 v12, v12, 4, 0
	v_sub_nc_u16 v14, v56, v14
	ds_write_b128 v12, v[0:3]
	ds_write_b128 v12, v[8:11] offset:16
	ds_write_b128 v12, v[15:18] offset:32
	;; [unrolled: 1-line block ×4, first 2 shown]
	v_mul_u32_u24_sdwa v0, v14, v43 dst_sel:DWORD dst_unused:UNUSED_PAD src0_sel:BYTE_0 src1_sel:DWORD
	ds_write_b128 v12, v[4:7] offset:80
	ds_write_b128 v12, v[27:30] offset:96
	;; [unrolled: 1-line block ×4, first 2 shown]
	v_mad_i32_i24 v51, 0xffffff70, v56, v12
	v_lshlrev_b32_e32 v35, 4, v0
	ds_write_b128 v12, v[39:42] offset:144
	s_waitcnt lgkmcnt(0)
	s_barrier
	buffer_gl0_inv
	s_clause 0x8
	global_load_dwordx4 v[0:3], v35, s[12:13] offset:32
	global_load_dwordx4 v[4:7], v35, s[12:13] offset:64
	;; [unrolled: 1-line block ×4, first 2 shown]
	global_load_dwordx4 v[19:22], v35, s[12:13]
	global_load_dwordx4 v[23:26], v35, s[12:13] offset:16
	global_load_dwordx4 v[27:30], v35, s[12:13] offset:48
	;; [unrolled: 1-line block ×4, first 2 shown]
	ds_read_b128 v[39:42], v51 offset:6240
	ds_read_b128 v[43:46], v51 offset:10400
	;; [unrolled: 1-line block ×9, first 2 shown]
	ds_read_b128 v[81:84], v51
	s_waitcnt vmcnt(0) lgkmcnt(0)
	s_barrier
	buffer_gl0_inv
	v_mul_f64 v[85:86], v[39:40], v[2:3]
	v_mul_f64 v[87:88], v[43:44], v[6:7]
	;; [unrolled: 1-line block ×18, first 2 shown]
	v_fma_f64 v[41:42], v[41:42], v[0:1], -v[85:86]
	v_fma_f64 v[45:46], v[45:46], v[4:5], -v[87:88]
	v_fma_f64 v[49:50], v[49:50], v[8:9], -v[89:90]
	v_fma_f64 v[59:60], v[59:60], v[15:16], -v[91:92]
	v_fma_f64 v[65:66], v[65:66], v[23:24], v[95:96]
	v_fma_f64 v[23:24], v[67:68], v[23:24], -v[25:26]
	v_fma_f64 v[0:1], v[39:40], v[0:1], v[2:3]
	v_fma_f64 v[2:3], v[69:70], v[27:28], v[97:98]
	v_fma_f64 v[25:26], v[71:72], v[27:28], -v[29:30]
	v_fma_f64 v[4:5], v[43:44], v[4:5], v[6:7]
	;; [unrolled: 3-line block ×4, first 2 shown]
	v_fma_f64 v[31:32], v[79:80], v[35:36], -v[37:38]
	v_fma_f64 v[19:20], v[61:62], v[19:20], v[21:22]
	v_add_f64 v[91:92], v[41:42], -v[45:46]
	v_add_f64 v[17:18], v[45:46], v[49:50]
	v_add_f64 v[33:34], v[41:42], v[59:60]
	v_add_f64 v[93:94], v[59:60], -v[49:50]
	v_add_f64 v[95:96], v[45:46], -v[41:42]
	;; [unrolled: 1-line block ×6, first 2 shown]
	v_add_f64 v[69:70], v[81:82], v[65:66]
	v_add_f64 v[21:22], v[2:3], v[6:7]
	;; [unrolled: 1-line block ×5, first 2 shown]
	v_add_f64 v[57:58], v[4:5], -v[8:9]
	v_add_f64 v[61:62], v[0:1], -v[10:11]
	v_add_f64 v[35:36], v[65:66], v[27:28]
	v_add_f64 v[39:40], v[23:24], v[31:32]
	v_add_f64 v[67:68], v[27:28], -v[6:7]
	v_add_f64 v[71:72], v[83:84], v[23:24]
	v_add_f64 v[73:74], v[2:3], -v[65:66]
	v_add_f64 v[75:76], v[6:7], -v[27:28]
	;; [unrolled: 1-line block ×3, first 2 shown]
	v_fma_f64 v[17:18], v[17:18], -0.5, v[15:16]
	v_fma_f64 v[33:34], v[33:34], -0.5, v[15:16]
	v_add_f64 v[85:86], v[25:26], -v[23:24]
	v_add_f64 v[89:90], v[0:1], -v[4:5]
	;; [unrolled: 1-line block ×7, first 2 shown]
	v_add_f64 v[0:1], v[19:20], v[0:1]
	v_add_f64 v[15:16], v[15:16], v[41:42]
	v_fma_f64 v[43:44], v[43:44], -0.5, v[19:20]
	v_fma_f64 v[47:48], v[47:48], -0.5, v[19:20]
	v_add_f64 v[19:20], v[65:66], -v[27:28]
	v_add_f64 v[23:24], v[23:24], -v[31:32]
	v_fma_f64 v[21:22], v[21:22], -0.5, v[81:82]
	v_fma_f64 v[35:36], v[35:36], -0.5, v[81:82]
	;; [unrolled: 1-line block ×4, first 2 shown]
	v_add_f64 v[41:42], v[63:64], v[67:68]
	v_add_f64 v[63:64], v[91:92], v[93:94]
	;; [unrolled: 1-line block ×3, first 2 shown]
	v_fma_f64 v[105:106], v[61:62], s[0:1], v[17:18]
	v_fma_f64 v[107:108], v[57:58], s[14:15], v[33:34]
	;; [unrolled: 1-line block ×4, first 2 shown]
	v_add_f64 v[79:80], v[31:32], -v[29:30]
	v_add_f64 v[87:88], v[29:30], -v[31:32]
	v_add_f64 v[2:3], v[69:70], v[2:3]
	v_add_f64 v[25:26], v[71:72], v[25:26]
	;; [unrolled: 1-line block ×4, first 2 shown]
	v_fma_f64 v[67:68], v[101:102], s[14:15], v[43:44]
	v_fma_f64 v[81:82], v[99:100], s[0:1], v[47:48]
	;; [unrolled: 1-line block ×15, first 2 shown]
	v_add_f64 v[61:62], v[73:74], v[75:76]
	v_add_f64 v[73:74], v[89:90], v[103:104]
	;; [unrolled: 1-line block ×3, first 2 shown]
	v_fma_f64 v[39:40], v[113:114], s[0:1], v[39:40]
	v_add_f64 v[2:3], v[2:3], v[6:7]
	v_add_f64 v[6:7], v[25:26], v[29:30]
	;; [unrolled: 1-line block ×3, first 2 shown]
	v_fma_f64 v[67:68], v[99:100], s[6:7], v[67:68]
	v_fma_f64 v[75:76], v[101:102], s[6:7], v[81:82]
	;; [unrolled: 1-line block ×4, first 2 shown]
	v_add_f64 v[4:5], v[4:5], v[49:50]
	v_fma_f64 v[8:9], v[115:116], s[6:7], v[15:16]
	v_fma_f64 v[15:16], v[115:116], s[4:5], v[21:22]
	;; [unrolled: 1-line block ×10, first 2 shown]
	v_add_f64 v[65:66], v[77:78], v[79:80]
	v_add_f64 v[63:64], v[85:86], v[87:88]
	v_fma_f64 v[35:36], v[19:20], s[4:5], v[71:72]
	v_fma_f64 v[19:20], v[19:20], s[6:7], v[39:40]
	v_add_f64 v[27:28], v[2:3], v[27:28]
	v_add_f64 v[6:7], v[6:7], v[31:32]
	;; [unrolled: 1-line block ×3, first 2 shown]
	v_fma_f64 v[37:38], v[73:74], s[8:9], v[67:68]
	v_fma_f64 v[45:46], v[57:58], s[8:9], v[75:76]
	v_fma_f64 v[47:48], v[57:58], s[8:9], v[47:48]
	v_fma_f64 v[39:40], v[73:74], s[8:9], v[43:44]
	v_add_f64 v[4:5], v[4:5], v[59:60]
	v_fma_f64 v[59:60], v[41:42], s[8:9], v[8:9]
	v_fma_f64 v[15:16], v[41:42], s[8:9], v[15:16]
	;; [unrolled: 1-line block ×4, first 2 shown]
	v_mul_f64 v[49:50], v[81:82], s[6:7]
	v_mul_f64 v[57:58], v[83:84], s[14:15]
	;; [unrolled: 1-line block ×8, first 2 shown]
	v_fma_f64 v[22:23], v[65:66], s[8:9], v[25:26]
	v_fma_f64 v[24:25], v[65:66], s[8:9], v[29:30]
	v_add_f64 v[0:1], v[27:28], v[10:11]
	v_mov_b32_e32 v26, 4
	v_add_f64 v[2:3], v[6:7], v[4:5]
	v_lshlrev_b32_sdwa v14, v26, v14 dst_sel:DWORD dst_unused:UNUSED_PAD src0_sel:DWORD src1_sel:BYTE_0
	v_fma_f64 v[29:30], v[37:38], s[16:17], v[49:50]
	v_fma_f64 v[57:58], v[45:46], s[8:9], v[57:58]
	;; [unrolled: 1-line block ×10, first 2 shown]
	v_add_f64 v[32:33], v[27:28], -v[10:11]
	v_add_f64 v[34:35], v[6:7], -v[4:5]
	v_mov_b32_e32 v19, 0x640
	v_cmp_gt_u32_e64 s0, 0x64, v56
                                        ; implicit-def: $vgpr26_vgpr27
	v_mul_u32_u24_sdwa v13, v13, v19 dst_sel:DWORD dst_unused:UNUSED_PAD src0_sel:WORD_0 src1_sel:DWORD
	v_add_f64 v[4:5], v[59:60], v[29:30]
	v_add_f64 v[8:9], v[41:42], v[57:58]
	;; [unrolled: 1-line block ×4, first 2 shown]
	v_add_f64 v[48:49], v[59:60], -v[29:30]
	v_add_f64 v[50:51], v[22:23], -v[37:38]
	v_add_f64 v[28:29], v[15:16], v[69:70]
	v_add_f64 v[10:11], v[67:68], v[71:72]
	;; [unrolled: 1-line block ×4, first 2 shown]
	v_add_f64 v[40:41], v[41:42], -v[57:58]
	v_add_f64 v[44:45], v[61:62], -v[65:66]
	;; [unrolled: 1-line block ×6, first 2 shown]
	v_add3_u32 v13, 0, v13, v14
	ds_write_b128 v13, v[0:3]
	ds_write_b128 v13, v[32:35] offset:800
	ds_write_b128 v13, v[4:7] offset:160
	;; [unrolled: 1-line block ×9, first 2 shown]
	s_waitcnt lgkmcnt(0)
	s_barrier
	buffer_gl0_inv
                                        ; implicit-def: $vgpr14_vgpr15
                                        ; implicit-def: $vgpr18_vgpr19
	s_and_saveexec_b32 s1, s0
	s_cbranch_execz .LBB0_15
; %bb.14:
	v_mul_i32_i24_e32 v0, 0xffffff70, v56
	v_add_nc_u32_e32 v12, v12, v0
	ds_read_b128 v[0:3], v12
	ds_read_b128 v[4:7], v12 offset:1600
	ds_read_b128 v[8:11], v12 offset:3200
	;; [unrolled: 1-line block ×12, first 2 shown]
.LBB0_15:
	s_or_b32 exec_lo, exec_lo, s1
	v_cmp_gt_u32_e64 s1, 0x64, v56
	s_and_b32 s1, vcc_lo, s1
	s_and_saveexec_b32 s4, s1
	s_cbranch_execz .LBB0_17
; %bb.16:
	v_add_nc_u32_e32 v57, 0xffffff9c, v56
	v_mov_b32_e32 v60, 0
	s_mov_b32 s9, 0xbfea55e2
	s_mov_b32 s4, 0x1ea71119
	;; [unrolled: 1-line block ×3, first 2 shown]
	v_cndmask_b32_e64 v57, v57, v56, s0
	s_mov_b32 s6, 0x2ef20147
	s_mov_b32 s7, 0xbfedeba7
	;; [unrolled: 1-line block ×4, first 2 shown]
	v_mul_i32_i24_e32 v59, 12, v57
	s_mov_b32 s16, 0x4bc48dbf
	s_mov_b32 s17, 0xbfcea1e5
	;; [unrolled: 1-line block ×4, first 2 shown]
	v_lshlrev_b64 v[57:58], 4, v[59:60]
	s_mov_b32 s20, 0x24c2f84
	s_mov_b32 s21, 0xbfe5384d
	;; [unrolled: 1-line block ×5, first 2 shown]
	v_add_co_u32 v73, vcc_lo, s12, v57
	v_add_co_ci_u32_e32 v74, vcc_lo, s13, v58, vcc_lo
	s_mov_b32 s12, 0x42a4c3d2
	s_mov_b32 s13, 0x3fea55e2
	;; [unrolled: 1-line block ×3, first 2 shown]
	s_clause 0x1
	global_load_dwordx4 v[61:64], v[73:74], off offset:1520
	global_load_dwordx4 v[65:68], v[73:74], off offset:1504
	s_mov_b32 s19, 0xbfe7f3cc
	s_mov_b32 s26, 0x66966769
	;; [unrolled: 1-line block ×9, first 2 shown]
	v_lshlrev_b64 v[52:53], 4, v[52:53]
	s_waitcnt vmcnt(1) lgkmcnt(6)
	v_mul_f64 v[57:58], v[50:51], v[63:64]
	v_fma_f64 v[58:59], v[48:49], v[61:62], v[57:58]
	v_mul_f64 v[48:49], v[48:49], v[63:64]
	v_mul_lo_u32 v57, s3, v54
	s_mov_b32 s3, 0xbfefc445
	v_fma_f64 v[48:49], v[50:51], v[61:62], -v[48:49]
	s_clause 0x1
	global_load_dwordx4 v[61:64], v[73:74], off offset:1536
	global_load_dwordx4 v[69:72], v[73:74], off offset:1552
	s_waitcnt vmcnt(1) lgkmcnt(5)
	v_mul_f64 v[50:51], v[42:43], v[63:64]
	v_fma_f64 v[50:51], v[40:41], v[61:62], v[50:51]
	v_mul_f64 v[40:41], v[40:41], v[63:64]
	v_add_f64 v[133:134], v[58:59], v[50:51]
	v_fma_f64 v[40:41], v[42:43], v[61:62], -v[40:41]
	v_mul_f64 v[42:43], v[34:35], v[67:68]
	v_add_f64 v[131:132], v[48:49], -v[40:41]
	v_fma_f64 v[42:43], v[32:33], v[65:66], v[42:43]
	v_mul_f64 v[32:33], v[32:33], v[67:68]
	v_mul_f64 v[135:136], v[131:132], s[30:31]
	;; [unrolled: 1-line block ×3, first 2 shown]
	v_fma_f64 v[34:35], v[34:35], v[65:66], -v[32:33]
	s_clause 0x1
	global_load_dwordx4 v[61:64], v[73:74], off offset:1488
	global_load_dwordx4 v[65:68], v[73:74], off offset:1472
	s_waitcnt vmcnt(2) lgkmcnt(4)
	v_mul_f64 v[32:33], v[46:47], v[71:72]
	v_mul_f64 v[181:182], v[131:132], s[12:13]
	;; [unrolled: 1-line block ×4, first 2 shown]
	v_fma_f64 v[32:33], v[44:45], v[69:70], v[32:33]
	v_mul_f64 v[44:45], v[44:45], v[71:72]
	v_fma_f64 v[44:45], v[46:47], v[69:70], -v[44:45]
	s_waitcnt vmcnt(1)
	v_mul_f64 v[46:47], v[30:31], v[63:64]
	v_fma_f64 v[46:47], v[28:29], v[61:62], v[46:47]
	v_mul_f64 v[28:29], v[28:29], v[63:64]
	v_fma_f64 v[30:31], v[30:31], v[61:62], -v[28:29]
	s_clause 0x1
	global_load_dwordx4 v[61:64], v[73:74], off offset:1568
	global_load_dwordx4 v[69:72], v[73:74], off offset:1584
	s_waitcnt vmcnt(1) lgkmcnt(3)
	v_mul_f64 v[28:29], v[38:39], v[63:64]
	v_fma_f64 v[28:29], v[36:37], v[61:62], v[28:29]
	v_mul_f64 v[36:37], v[36:37], v[63:64]
	v_fma_f64 v[36:37], v[38:39], v[61:62], -v[36:37]
	v_mul_f64 v[38:39], v[22:23], v[67:68]
	v_fma_f64 v[38:39], v[20:21], v[65:66], v[38:39]
	v_mul_f64 v[20:21], v[20:21], v[67:68]
	v_fma_f64 v[20:21], v[22:23], v[65:66], -v[20:21]
	s_clause 0x1
	global_load_dwordx4 v[61:64], v[73:74], off offset:1456
	global_load_dwordx4 v[65:68], v[73:74], off offset:1440
	s_waitcnt vmcnt(2) lgkmcnt(2)
	v_mul_f64 v[22:23], v[26:27], v[71:72]
	v_fma_f64 v[22:23], v[24:25], v[69:70], v[22:23]
	v_mul_f64 v[24:25], v[24:25], v[71:72]
	v_fma_f64 v[24:25], v[26:27], v[69:70], -v[24:25]
	s_waitcnt vmcnt(1)
	v_mul_f64 v[26:27], v[10:11], v[63:64]
	v_fma_f64 v[26:27], v[8:9], v[61:62], v[26:27]
	v_mul_f64 v[8:9], v[8:9], v[63:64]
	v_fma_f64 v[8:9], v[10:11], v[61:62], -v[8:9]
	s_clause 0x1
	global_load_dwordx4 v[61:64], v[73:74], off offset:1600
	global_load_dwordx4 v[69:72], v[73:74], off offset:1616
	s_waitcnt vmcnt(1) lgkmcnt(1)
	v_mul_f64 v[10:11], v[18:19], v[63:64]
	v_fma_f64 v[10:11], v[16:17], v[61:62], v[10:11]
	v_mul_f64 v[16:17], v[16:17], v[63:64]
	v_fma_f64 v[16:17], v[18:19], v[61:62], -v[16:17]
	v_mul_f64 v[18:19], v[6:7], v[67:68]
	v_add_f64 v[75:76], v[8:9], -v[16:17]
	v_fma_f64 v[18:19], v[4:5], v[65:66], v[18:19]
	v_mul_f64 v[4:5], v[4:5], v[67:68]
	v_mul_f64 v[83:84], v[75:76], s[6:7]
	;; [unrolled: 1-line block ×3, first 2 shown]
	v_fma_f64 v[61:62], v[6:7], v[65:66], -v[4:5]
	s_waitcnt vmcnt(0) lgkmcnt(0)
	v_mul_f64 v[4:5], v[14:15], v[71:72]
	v_mul_f64 v[6:7], v[12:13], v[71:72]
	;; [unrolled: 1-line block ×4, first 2 shown]
	v_add_f64 v[213:214], v[2:3], v[61:62]
	v_fma_f64 v[4:5], v[12:13], v[69:70], v[4:5]
	v_fma_f64 v[6:7], v[14:15], v[69:70], -v[6:7]
	v_add_f64 v[14:15], v[26:27], -v[10:11]
	v_add_f64 v[65:66], v[18:19], -v[4:5]
	v_add_f64 v[63:64], v[61:62], v[6:7]
	v_mul_f64 v[69:70], v[14:15], s[6:7]
	v_add_f64 v[123:124], v[61:62], -v[6:7]
	v_add_f64 v[117:118], v[18:19], v[4:5]
	v_mul_f64 v[137:138], v[14:15], s[16:17]
	v_mul_f64 v[161:162], v[14:15], s[28:29]
	v_mul_f64 v[185:186], v[14:15], s[26:27]
	v_add_f64 v[18:19], v[0:1], v[18:19]
	v_mul_f64 v[67:68], v[65:66], s[8:9]
	v_mul_f64 v[159:160], v[65:66], s[6:7]
	;; [unrolled: 1-line block ×6, first 2 shown]
	v_add_f64 v[18:19], v[26:27], v[18:19]
	v_fma_f64 v[12:13], v[63:64], s[4:5], -v[67:68]
	v_fma_f64 v[67:68], v[63:64], s[4:5], v[67:68]
	v_add_f64 v[18:19], v[38:39], v[18:19]
	v_add_f64 v[71:72], v[2:3], v[12:13]
	;; [unrolled: 1-line block ×5, first 2 shown]
	v_fma_f64 v[73:74], v[12:13], s[0:1], -v[69:70]
	v_add_f64 v[8:9], v[20:21], v[8:9]
	v_add_f64 v[18:19], v[42:43], v[18:19]
	;; [unrolled: 1-line block ×3, first 2 shown]
	v_fma_f64 v[71:72], v[117:118], s[4:5], v[121:122]
	v_fma_f64 v[121:122], v[117:118], s[4:5], -v[121:122]
	v_add_f64 v[8:9], v[30:31], v[8:9]
	v_add_f64 v[18:19], v[58:59], v[18:19]
	v_add_f64 v[73:74], v[0:1], v[71:72]
	v_add_f64 v[71:72], v[26:27], v[10:11]
	v_add_f64 v[8:9], v[34:35], v[8:9]
	v_add_f64 v[18:19], v[50:51], v[18:19]
	v_fma_f64 v[77:78], v[71:72], s[0:1], v[83:84]
	v_fma_f64 v[191:192], v[71:72], s[22:23], v[189:190]
	v_fma_f64 v[83:84], v[71:72], s[0:1], -v[83:84]
	v_add_f64 v[8:9], v[48:49], v[8:9]
	v_add_f64 v[18:19], v[32:33], v[18:19]
	;; [unrolled: 1-line block ×3, first 2 shown]
	v_add_f64 v[77:78], v[38:39], -v[22:23]
	v_add_f64 v[73:74], v[20:21], v[24:25]
	v_add_f64 v[8:9], v[40:41], v[8:9]
	v_add_f64 v[18:19], v[28:29], v[18:19]
	v_mul_f64 v[85:86], v[77:78], s[16:17]
	v_mul_f64 v[167:168], v[77:78], s[30:31]
	v_add_f64 v[8:9], v[44:45], v[8:9]
	v_add_f64 v[18:19], v[22:23], v[18:19]
	v_fma_f64 v[87:88], v[73:74], s[14:15], -v[85:86]
	v_fma_f64 v[85:86], v[73:74], s[14:15], v[85:86]
	v_add_f64 v[8:9], v[36:37], v[8:9]
	v_add_f64 v[10:11], v[10:11], v[18:19]
	;; [unrolled: 1-line block ×3, first 2 shown]
	v_add_f64 v[87:88], v[20:21], -v[24:25]
	v_add_f64 v[79:80], v[38:39], v[22:23]
	v_add_f64 v[8:9], v[24:25], v[8:9]
	;; [unrolled: 1-line block ×3, first 2 shown]
	v_mul_f64 v[95:96], v[87:88], s[16:17]
	v_mul_f64 v[169:170], v[87:88], s[30:31]
	v_add_f64 v[8:9], v[16:17], v[8:9]
	v_fma_f64 v[89:90], v[79:80], s[14:15], v[95:96]
	v_add_f64 v[6:7], v[6:7], v[8:9]
	v_add_f64 v[93:94], v[89:90], v[81:82]
	v_add_f64 v[89:90], v[46:47], -v[28:29]
	v_add_f64 v[81:82], v[30:31], v[36:37]
	v_mul_f64 v[97:98], v[89:90], s[28:29]
	v_mul_f64 v[147:148], v[89:90], s[30:31]
	v_fma_f64 v[99:100], v[81:82], s[18:19], -v[97:98]
	v_add_f64 v[103:104], v[99:100], v[91:92]
	v_add_f64 v[99:100], v[30:31], -v[36:37]
	v_add_f64 v[91:92], v[46:47], v[28:29]
	v_mul_f64 v[107:108], v[99:100], s[28:29]
	v_mul_f64 v[149:150], v[99:100], s[30:31]
	v_fma_f64 v[101:102], v[91:92], s[18:19], v[107:108]
	v_add_f64 v[105:106], v[101:102], v[93:94]
	v_add_f64 v[101:102], v[42:43], -v[32:33]
	v_add_f64 v[93:94], v[34:35], v[44:45]
	v_mul_f64 v[109:110], v[101:102], s[26:27]
	v_mul_f64 v[151:152], v[101:102], s[8:9]
	v_fma_f64 v[111:112], v[93:94], s[22:23], -v[109:110]
	v_add_f64 v[125:126], v[111:112], v[103:104]
	v_add_f64 v[111:112], v[34:35], -v[44:45]
	v_add_f64 v[103:104], v[42:43], v[32:33]
	v_mul_f64 v[115:116], v[111:112], s[26:27]
	v_mul_f64 v[153:154], v[111:112], s[8:9]
	v_fma_f64 v[113:114], v[103:104], s[22:23], v[115:116]
	v_add_f64 v[129:130], v[113:114], v[105:106]
	v_add_f64 v[113:114], v[58:59], -v[50:51]
	v_add_f64 v[105:106], v[48:49], v[40:41]
	v_mul_f64 v[119:120], v[113:114], s[30:31]
	v_mul_f64 v[155:156], v[113:114], s[20:21]
	;; [unrolled: 1-line block ×5, first 2 shown]
	v_fma_f64 v[127:128], v[105:106], s[24:25], -v[119:120]
	v_add_f64 v[127:128], v[127:128], v[125:126]
	v_fma_f64 v[125:126], v[133:134], s[24:25], v[135:136]
	v_add_f64 v[125:126], v[125:126], v[129:130]
	v_mul_lo_u32 v129, s2, v55
	v_mad_u64_u32 v[54:55], null, s2, v54, 0
	s_mov_b32 s2, s26
	v_mul_f64 v[139:140], v[123:124], s[2:3]
	v_mul_f64 v[171:172], v[89:90], s[2:3]
	v_mul_f64 v[173:174], v[99:100], s[2:3]
	v_add3_u32 v55, v55, v129, v57
	v_mov_b32_e32 v57, v60
	v_mul_f64 v[129:130], v[65:66], s[2:3]
	v_lshlrev_b64 v[54:55], 4, v[54:55]
	v_add_co_u32 v54, vcc_lo, s10, v54
	v_add_co_ci_u32_e32 v55, vcc_lo, s11, v55, vcc_lo
	s_mov_b32 s11, 0x3fedeba7
	v_add_co_u32 v54, vcc_lo, v54, v52
	v_add_co_ci_u32_e32 v55, vcc_lo, v55, v53, vcc_lo
	v_lshlrev_b64 v[52:53], 4, v[56:57]
	v_fma_f64 v[56:57], v[12:13], s[14:15], -v[137:138]
	s_mov_b32 s10, s6
	v_mul_f64 v[143:144], v[77:78], s[10:11]
	v_mul_f64 v[145:146], v[87:88], s[10:11]
	v_add_co_u32 v52, vcc_lo, v54, v52
	v_add_co_ci_u32_e32 v53, vcc_lo, v55, v53, vcc_lo
	s_mov_b32 s11, 0x3fcea1e5
	v_add_co_u32 v54, vcc_lo, 0x800, v52
	v_add_co_ci_u32_e32 v55, vcc_lo, 0, v53, vcc_lo
	s_mov_b32 s10, s16
	v_mul_f64 v[175:176], v[101:102], s[10:11]
	global_store_dwordx4 v[54:55], v[125:128], off offset:1152
	v_fma_f64 v[54:55], v[63:64], s[22:23], -v[129:130]
	v_fma_f64 v[125:126], v[71:72], s[14:15], v[141:142]
	v_mul_f64 v[177:178], v[111:112], s[10:11]
	v_fma_f64 v[127:128], v[12:13], s[22:23], -v[185:186]
	v_fma_f64 v[129:130], v[63:64], s[22:23], v[129:130]
	v_add_f64 v[54:55], v[2:3], v[54:55]
	v_add_f64 v[129:130], v[2:3], v[129:130]
	;; [unrolled: 1-line block ×3, first 2 shown]
	v_fma_f64 v[56:57], v[117:118], s[22:23], v[139:140]
	v_fma_f64 v[139:140], v[117:118], s[22:23], -v[139:140]
	v_add_f64 v[56:57], v[0:1], v[56:57]
	v_add_f64 v[139:140], v[0:1], v[139:140]
	;; [unrolled: 1-line block ×3, first 2 shown]
	v_fma_f64 v[125:126], v[73:74], s[0:1], -v[143:144]
	v_add_f64 v[54:55], v[125:126], v[54:55]
	v_fma_f64 v[125:126], v[79:80], s[0:1], v[145:146]
	v_add_f64 v[56:57], v[125:126], v[56:57]
	v_fma_f64 v[125:126], v[81:82], s[24:25], -v[147:148]
	v_add_f64 v[54:55], v[125:126], v[54:55]
	v_fma_f64 v[125:126], v[91:92], s[24:25], v[149:150]
	v_add_f64 v[56:57], v[125:126], v[56:57]
	;; [unrolled: 4-line block ×4, first 2 shown]
	v_add_co_u32 v125, vcc_lo, 0x1000, v52
	v_add_co_ci_u32_e32 v126, vcc_lo, 0, v53, vcc_lo
	global_store_dwordx4 v[125:126], v[54:57], off offset:704
	v_fma_f64 v[54:55], v[63:64], s[0:1], -v[159:160]
	v_fma_f64 v[56:57], v[12:13], s[18:19], -v[161:162]
	v_fma_f64 v[125:126], v[71:72], s[18:19], v[165:166]
	v_fma_f64 v[159:160], v[63:64], s[0:1], v[159:160]
	v_add_f64 v[54:55], v[2:3], v[54:55]
	v_add_f64 v[159:160], v[2:3], v[159:160]
	;; [unrolled: 1-line block ×3, first 2 shown]
	v_fma_f64 v[56:57], v[117:118], s[0:1], v[163:164]
	v_fma_f64 v[163:164], v[117:118], s[0:1], -v[163:164]
	v_add_f64 v[56:57], v[0:1], v[56:57]
	v_add_f64 v[163:164], v[0:1], v[163:164]
	;; [unrolled: 1-line block ×3, first 2 shown]
	v_fma_f64 v[125:126], v[73:74], s[24:25], -v[167:168]
	v_add_f64 v[54:55], v[125:126], v[54:55]
	v_fma_f64 v[125:126], v[79:80], s[24:25], v[169:170]
	v_add_f64 v[56:57], v[125:126], v[56:57]
	v_fma_f64 v[125:126], v[81:82], s[22:23], -v[171:172]
	v_add_f64 v[54:55], v[125:126], v[54:55]
	v_fma_f64 v[125:126], v[91:92], s[22:23], v[173:174]
	v_add_f64 v[56:57], v[125:126], v[56:57]
	;; [unrolled: 4-line block ×4, first 2 shown]
	v_fma_f64 v[125:126], v[63:64], s[18:19], -v[183:184]
	v_fma_f64 v[183:184], v[63:64], s[18:19], v[183:184]
	v_add_f64 v[125:126], v[2:3], v[125:126]
	v_add_f64 v[125:126], v[127:128], v[125:126]
	v_fma_f64 v[127:128], v[117:118], s[18:19], v[187:188]
	v_fma_f64 v[187:188], v[117:118], s[18:19], -v[187:188]
	v_add_f64 v[127:128], v[0:1], v[127:128]
	v_add_f64 v[127:128], v[191:192], v[127:128]
	v_mul_f64 v[191:192], v[77:78], s[8:9]
	v_fma_f64 v[193:194], v[73:74], s[4:5], -v[191:192]
	v_add_f64 v[125:126], v[193:194], v[125:126]
	v_mul_f64 v[193:194], v[87:88], s[8:9]
	v_fma_f64 v[195:196], v[79:80], s[4:5], v[193:194]
	v_add_f64 v[127:128], v[195:196], v[127:128]
	v_mul_f64 v[195:196], v[89:90], s[10:11]
	v_fma_f64 v[197:198], v[81:82], s[14:15], -v[195:196]
	v_add_f64 v[125:126], v[197:198], v[125:126]
	v_mul_f64 v[197:198], v[99:100], s[10:11]
	v_fma_f64 v[199:200], v[91:92], s[14:15], v[197:198]
	;; [unrolled: 6-line block ×3, first 2 shown]
	v_add_f64 v[203:204], v[203:204], v[127:128]
	v_fma_f64 v[127:128], v[105:106], s[0:1], -v[205:206]
	v_add_f64 v[127:128], v[127:128], v[125:126]
	v_fma_f64 v[125:126], v[133:134], s[0:1], v[207:208]
	v_add_f64 v[125:126], v[125:126], v[203:204]
	v_add_co_u32 v203, vcc_lo, 0x1800, v52
	v_add_co_ci_u32_e32 v204, vcc_lo, 0, v53, vcc_lo
	global_store_dwordx4 v[203:204], v[54:57], off offset:256
	global_store_dwordx4 v[203:204], v[125:128], off offset:1856
	v_mul_f64 v[54:55], v[14:15], s[30:31]
	v_mul_f64 v[56:57], v[75:76], s[30:31]
	s_mov_b32 s31, 0xbfddbe06
	v_mul_f64 v[125:126], v[65:66], s[16:17]
	v_mul_f64 v[65:66], v[65:66], s[30:31]
	;; [unrolled: 1-line block ×3, first 2 shown]
	v_add_co_u32 v16, vcc_lo, 0x2000, v52
	v_add_co_ci_u32_e32 v17, vcc_lo, 0, v53, vcc_lo
	v_add_co_u32 v8, vcc_lo, 0x2800, v52
	v_add_co_ci_u32_e32 v9, vcc_lo, 0, v53, vcc_lo
	;; [unrolled: 2-line block ×3, first 2 shown]
	v_fma_f64 v[127:128], v[63:64], s[14:15], v[125:126]
	v_fma_f64 v[125:126], v[63:64], s[14:15], -v[125:126]
	v_fma_f64 v[203:204], v[63:64], s[24:25], v[65:66]
	v_fma_f64 v[63:64], v[63:64], s[24:25], -v[65:66]
	v_mul_f64 v[65:66], v[123:124], s[16:17]
	v_mul_f64 v[123:124], v[123:124], s[30:31]
	v_add_f64 v[60:61], v[2:3], v[127:128]
	v_add_f64 v[127:128], v[2:3], v[183:184]
	;; [unrolled: 1-line block ×4, first 2 shown]
	v_fma_f64 v[209:210], v[117:118], s[14:15], -v[65:66]
	v_fma_f64 v[65:66], v[117:118], s[14:15], v[65:66]
	v_fma_f64 v[211:212], v[117:118], s[24:25], -v[123:124]
	v_fma_f64 v[117:118], v[117:118], s[24:25], v[123:124]
	v_add_f64 v[125:126], v[2:3], v[125:126]
	v_add_f64 v[187:188], v[2:3], v[67:68]
	;; [unrolled: 1-line block ×3, first 2 shown]
	v_fma_f64 v[2:3], v[71:72], s[24:25], -v[56:57]
	v_fma_f64 v[56:57], v[71:72], s[24:25], v[56:57]
	v_add_f64 v[123:124], v[0:1], v[209:210]
	v_add_f64 v[65:66], v[0:1], v[65:66]
	;; [unrolled: 1-line block ×5, first 2 shown]
	v_fma_f64 v[0:1], v[12:13], s[24:25], v[54:55]
	v_fma_f64 v[54:55], v[12:13], s[24:25], -v[54:55]
	v_add_f64 v[2:3], v[2:3], v[123:124]
	v_add_f64 v[56:57], v[56:57], v[65:66]
	v_fma_f64 v[64:65], v[73:74], s[4:5], v[191:192]
	v_add_f64 v[83:84], v[83:84], v[209:210]
	v_add_f64 v[0:1], v[0:1], v[60:61]
	v_mul_f64 v[60:61], v[77:78], s[20:21]
	v_add_f64 v[54:55], v[54:55], v[125:126]
	v_fma_f64 v[125:126], v[73:74], s[0:1], v[143:144]
	v_fma_f64 v[62:63], v[73:74], s[18:19], v[60:61]
	v_fma_f64 v[60:61], v[73:74], s[18:19], -v[60:61]
	v_add_f64 v[0:1], v[62:63], v[0:1]
	v_mul_f64 v[62:63], v[87:88], s[20:21]
	v_add_f64 v[54:55], v[60:61], v[54:55]
	v_mul_f64 v[87:88], v[87:88], s[2:3]
	v_fma_f64 v[67:68], v[79:80], s[18:19], -v[62:63]
	v_fma_f64 v[60:61], v[79:80], s[18:19], v[62:63]
	v_fma_f64 v[62:63], v[133:134], s[22:23], v[223:224]
	v_add_f64 v[2:3], v[67:68], v[2:3]
	v_mul_f64 v[67:68], v[89:90], s[12:13]
	v_add_f64 v[56:57], v[60:61], v[56:57]
	v_mul_f64 v[89:90], v[89:90], s[6:7]
	v_fma_f64 v[121:122], v[81:82], s[4:5], v[67:68]
	v_fma_f64 v[60:61], v[81:82], s[4:5], -v[67:68]
	v_fma_f64 v[68:69], v[12:13], s[0:1], v[69:70]
	v_fma_f64 v[66:67], v[133:134], s[0:1], -v[207:208]
	v_add_f64 v[0:1], v[121:122], v[0:1]
	v_mul_f64 v[121:122], v[99:100], s[12:13]
	v_add_f64 v[54:55], v[60:61], v[54:55]
	v_add_f64 v[68:69], v[68:69], v[187:188]
	v_mul_f64 v[99:100], v[99:100], s[6:7]
	v_fma_f64 v[123:124], v[91:92], s[4:5], -v[121:122]
	v_fma_f64 v[60:61], v[91:92], s[4:5], v[121:122]
	v_add_f64 v[68:69], v[85:86], v[68:69]
	v_fma_f64 v[85:86], v[79:80], s[14:15], -v[95:96]
	v_fma_f64 v[121:122], v[73:74], s[24:25], v[167:168]
	v_fma_f64 v[95:96], v[133:134], s[24:25], -v[135:136]
	v_add_f64 v[2:3], v[123:124], v[2:3]
	v_mul_f64 v[123:124], v[101:102], s[6:7]
	v_add_f64 v[56:57], v[60:61], v[56:57]
	v_add_f64 v[83:84], v[85:86], v[83:84]
	v_fma_f64 v[85:86], v[81:82], s[18:19], v[97:98]
	v_mul_f64 v[97:98], v[77:78], s[2:3]
	v_mul_f64 v[101:102], v[101:102], s[20:21]
	v_fma_f64 v[217:218], v[93:94], s[0:1], v[123:124]
	v_fma_f64 v[60:61], v[93:94], s[0:1], -v[123:124]
	v_fma_f64 v[123:124], v[133:134], s[4:5], -v[181:182]
	v_add_f64 v[68:69], v[85:86], v[68:69]
	v_fma_f64 v[85:86], v[91:92], s[18:19], -v[107:108]
	v_fma_f64 v[77:78], v[73:74], s[22:23], v[97:98]
	v_mul_f64 v[107:108], v[111:112], s[20:21]
	v_add_f64 v[0:1], v[217:218], v[0:1]
	v_mul_f64 v[217:218], v[111:112], s[6:7]
	v_add_f64 v[54:55], v[60:61], v[54:55]
	v_mul_f64 v[111:112], v[131:132], s[16:17]
	v_add_f64 v[83:84], v[85:86], v[83:84]
	v_fma_f64 v[85:86], v[93:94], s[22:23], v[109:110]
	v_mul_f64 v[109:110], v[113:114], s[16:17]
	v_fma_f64 v[60:61], v[103:104], s[0:1], v[217:218]
	v_fma_f64 v[219:220], v[103:104], s[0:1], -v[217:218]
	v_add_f64 v[68:69], v[85:86], v[68:69]
	v_fma_f64 v[85:86], v[103:104], s[22:23], -v[115:116]
	v_add_f64 v[60:61], v[60:61], v[56:57]
	;; [unrolled: 2-line block ×3, first 2 shown]
	v_fma_f64 v[2:3], v[105:106], s[22:23], v[221:222]
	v_add_f64 v[83:84], v[85:86], v[83:84]
	v_fma_f64 v[85:86], v[105:106], s[24:25], v[119:120]
	v_add_f64 v[56:57], v[56:57], v[54:55]
	v_add_f64 v[54:55], v[62:63], v[60:61]
	v_fma_f64 v[60:61], v[12:13], s[22:23], v[185:186]
	v_fma_f64 v[62:63], v[71:72], s[22:23], -v[189:190]
	v_add_f64 v[83:84], v[95:96], v[83:84]
	v_add_f64 v[85:86], v[85:86], v[68:69]
	v_fma_f64 v[68:69], v[12:13], s[4:5], v[14:15]
	v_mul_f64 v[95:96], v[75:76], s[8:9]
	v_add_f64 v[2:3], v[2:3], v[0:1]
	v_fma_f64 v[0:1], v[133:134], s[22:23], -v[223:224]
	global_store_dwordx4 v[16:17], v[54:57], off offset:1408
	v_add_f64 v[60:61], v[60:61], v[127:128]
	v_add_f64 v[62:63], v[62:63], v[183:184]
	v_fma_f64 v[127:128], v[133:134], s[18:19], -v[157:158]
	v_add_co_u32 v16, vcc_lo, 0x3800, v52
	v_add_f64 v[68:69], v[68:69], v[203:204]
	v_fma_f64 v[75:76], v[71:72], s[4:5], -v[95:96]
	v_add_f64 v[0:1], v[0:1], v[219:220]
	v_add_co_ci_u32_e32 v17, vcc_lo, 0, v53, vcc_lo
	v_add_co_u32 v18, vcc_lo, 0x4000, v52
	v_add_co_ci_u32_e32 v19, vcc_lo, 0, v53, vcc_lo
	v_add_co_u32 v20, vcc_lo, 0x4800, v52
	v_add_co_ci_u32_e32 v21, vcc_lo, 0, v53, vcc_lo
	v_add_f64 v[60:61], v[64:65], v[60:61]
	v_fma_f64 v[64:65], v[79:80], s[4:5], -v[193:194]
	v_add_f64 v[68:69], v[77:78], v[68:69]
	v_add_f64 v[75:76], v[75:76], v[211:212]
	v_fma_f64 v[77:78], v[79:80], s[22:23], -v[87:88]
	v_add_f64 v[62:63], v[64:65], v[62:63]
	v_fma_f64 v[64:65], v[81:82], s[14:15], v[195:196]
	v_add_f64 v[75:76], v[77:78], v[75:76]
	v_fma_f64 v[77:78], v[81:82], s[0:1], v[89:90]
	v_add_f64 v[60:61], v[64:65], v[60:61]
	v_fma_f64 v[64:65], v[91:92], s[14:15], -v[197:198]
	v_add_f64 v[68:69], v[77:78], v[68:69]
	v_fma_f64 v[77:78], v[91:92], s[0:1], -v[99:100]
	v_add_f64 v[62:63], v[64:65], v[62:63]
	v_fma_f64 v[64:65], v[93:94], s[24:25], v[199:200]
	v_add_f64 v[75:76], v[77:78], v[75:76]
	v_fma_f64 v[77:78], v[93:94], s[18:19], v[101:102]
	v_add_f64 v[60:61], v[64:65], v[60:61]
	v_fma_f64 v[64:65], v[103:104], s[24:25], -v[201:202]
	v_add_f64 v[68:69], v[77:78], v[68:69]
	v_fma_f64 v[77:78], v[103:104], s[18:19], -v[107:108]
	v_add_f64 v[64:65], v[64:65], v[62:63]
	v_fma_f64 v[62:63], v[105:106], s[0:1], v[205:206]
	v_add_f64 v[75:76], v[77:78], v[75:76]
	v_fma_f64 v[77:78], v[105:106], s[14:15], v[109:110]
	v_add_f64 v[62:63], v[62:63], v[60:61]
	v_add_f64 v[60:61], v[66:67], v[64:65]
	v_fma_f64 v[64:65], v[12:13], s[18:19], v[161:162]
	v_fma_f64 v[66:67], v[71:72], s[18:19], -v[165:166]
	v_add_f64 v[77:78], v[77:78], v[68:69]
	v_fma_f64 v[68:69], v[133:134], s[14:15], -v[111:112]
	v_add_f64 v[64:65], v[64:65], v[159:160]
	v_add_f64 v[66:67], v[66:67], v[163:164]
	;; [unrolled: 1-line block ×3, first 2 shown]
	v_fma_f64 v[68:69], v[73:74], s[22:23], -v[97:98]
	v_add_f64 v[64:65], v[121:122], v[64:65]
	v_fma_f64 v[121:122], v[79:80], s[24:25], -v[169:170]
	v_add_f64 v[66:67], v[121:122], v[66:67]
	v_fma_f64 v[121:122], v[81:82], s[22:23], v[171:172]
	v_add_f64 v[64:65], v[121:122], v[64:65]
	v_fma_f64 v[121:122], v[91:92], s[22:23], -v[173:174]
	v_add_f64 v[66:67], v[121:122], v[66:67]
	v_fma_f64 v[121:122], v[93:94], s[14:15], v[175:176]
	;; [unrolled: 4-line block ×3, first 2 shown]
	v_add_f64 v[66:67], v[66:67], v[64:65]
	v_add_f64 v[64:65], v[123:124], v[121:122]
	v_fma_f64 v[121:122], v[12:13], s[14:15], v[137:138]
	v_fma_f64 v[123:124], v[71:72], s[14:15], -v[141:142]
	v_fma_f64 v[12:13], v[12:13], s[4:5], -v[14:15]
	v_fma_f64 v[14:15], v[71:72], s[4:5], v[95:96]
	v_fma_f64 v[70:71], v[79:80], s[22:23], v[87:88]
	v_fma_f64 v[72:73], v[81:82], s[0:1], -v[89:90]
	v_add_f64 v[121:122], v[121:122], v[129:130]
	v_add_f64 v[123:124], v[123:124], v[139:140]
	;; [unrolled: 1-line block ×5, first 2 shown]
	v_fma_f64 v[125:126], v[79:80], s[0:1], -v[145:146]
	v_fma_f64 v[79:80], v[91:92], s[0:1], v[99:100]
	v_add_f64 v[12:13], v[68:69], v[12:13]
	v_add_f64 v[14:15], v[70:71], v[14:15]
	v_fma_f64 v[68:69], v[93:94], s[18:19], -v[101:102]
	v_fma_f64 v[70:71], v[103:104], s[18:19], v[107:108]
	v_add_f64 v[123:124], v[125:126], v[123:124]
	v_fma_f64 v[125:126], v[81:82], s[24:25], v[147:148]
	v_add_f64 v[12:13], v[72:73], v[12:13]
	v_add_f64 v[14:15], v[79:80], v[14:15]
	v_fma_f64 v[72:73], v[105:106], s[14:15], -v[109:110]
	v_fma_f64 v[79:80], v[133:134], s[14:15], v[111:112]
	v_add_f64 v[121:122], v[125:126], v[121:122]
	v_fma_f64 v[125:126], v[91:92], s[24:25], -v[149:150]
	v_add_f64 v[12:13], v[68:69], v[12:13]
	v_add_f64 v[68:69], v[70:71], v[14:15]
	;; [unrolled: 1-line block ×3, first 2 shown]
	v_fma_f64 v[125:126], v[93:94], s[4:5], v[151:152]
	v_add_f64 v[14:15], v[72:73], v[12:13]
	v_add_f64 v[12:13], v[79:80], v[68:69]
	;; [unrolled: 1-line block ×3, first 2 shown]
	v_fma_f64 v[125:126], v[103:104], s[4:5], -v[153:154]
	v_add_f64 v[125:126], v[125:126], v[123:124]
	v_fma_f64 v[123:124], v[105:106], s[18:19], v[155:156]
	v_add_f64 v[123:124], v[123:124], v[121:122]
	v_add_f64 v[121:122], v[127:128], v[125:126]
	global_store_dwordx4 v[8:9], v[0:3], off offset:960
	global_store_dwordx4 v[10:11], v[60:63], off offset:512
	;; [unrolled: 1-line block ×6, first 2 shown]
	global_store_dwordx4 v[52:53], v[4:7], off
	global_store_dwordx4 v[20:21], v[75:78], off offset:768
.LBB0_17:
	s_endpgm
	.section	.rodata,"a",@progbits
	.p2align	6, 0x0
	.amdhsa_kernel fft_rtc_back_len1300_factors_10_10_13_wgs_130_tpt_130_dp_op_CI_CI_unitstride_sbrr_dirReg
		.amdhsa_group_segment_fixed_size 0
		.amdhsa_private_segment_fixed_size 0
		.amdhsa_kernarg_size 104
		.amdhsa_user_sgpr_count 6
		.amdhsa_user_sgpr_private_segment_buffer 1
		.amdhsa_user_sgpr_dispatch_ptr 0
		.amdhsa_user_sgpr_queue_ptr 0
		.amdhsa_user_sgpr_kernarg_segment_ptr 1
		.amdhsa_user_sgpr_dispatch_id 0
		.amdhsa_user_sgpr_flat_scratch_init 0
		.amdhsa_user_sgpr_private_segment_size 0
		.amdhsa_wavefront_size32 1
		.amdhsa_uses_dynamic_stack 0
		.amdhsa_system_sgpr_private_segment_wavefront_offset 0
		.amdhsa_system_sgpr_workgroup_id_x 1
		.amdhsa_system_sgpr_workgroup_id_y 0
		.amdhsa_system_sgpr_workgroup_id_z 0
		.amdhsa_system_sgpr_workgroup_info 0
		.amdhsa_system_vgpr_workitem_id 0
		.amdhsa_next_free_vgpr 225
		.amdhsa_next_free_sgpr 32
		.amdhsa_reserve_vcc 1
		.amdhsa_reserve_flat_scratch 0
		.amdhsa_float_round_mode_32 0
		.amdhsa_float_round_mode_16_64 0
		.amdhsa_float_denorm_mode_32 3
		.amdhsa_float_denorm_mode_16_64 3
		.amdhsa_dx10_clamp 1
		.amdhsa_ieee_mode 1
		.amdhsa_fp16_overflow 0
		.amdhsa_workgroup_processor_mode 1
		.amdhsa_memory_ordered 1
		.amdhsa_forward_progress 0
		.amdhsa_shared_vgpr_count 0
		.amdhsa_exception_fp_ieee_invalid_op 0
		.amdhsa_exception_fp_denorm_src 0
		.amdhsa_exception_fp_ieee_div_zero 0
		.amdhsa_exception_fp_ieee_overflow 0
		.amdhsa_exception_fp_ieee_underflow 0
		.amdhsa_exception_fp_ieee_inexact 0
		.amdhsa_exception_int_div_zero 0
	.end_amdhsa_kernel
	.text
.Lfunc_end0:
	.size	fft_rtc_back_len1300_factors_10_10_13_wgs_130_tpt_130_dp_op_CI_CI_unitstride_sbrr_dirReg, .Lfunc_end0-fft_rtc_back_len1300_factors_10_10_13_wgs_130_tpt_130_dp_op_CI_CI_unitstride_sbrr_dirReg
                                        ; -- End function
	.section	.AMDGPU.csdata,"",@progbits
; Kernel info:
; codeLenInByte = 9484
; NumSgprs: 34
; NumVgprs: 225
; ScratchSize: 0
; MemoryBound: 1
; FloatMode: 240
; IeeeMode: 1
; LDSByteSize: 0 bytes/workgroup (compile time only)
; SGPRBlocks: 4
; VGPRBlocks: 28
; NumSGPRsForWavesPerEU: 34
; NumVGPRsForWavesPerEU: 225
; Occupancy: 4
; WaveLimiterHint : 1
; COMPUTE_PGM_RSRC2:SCRATCH_EN: 0
; COMPUTE_PGM_RSRC2:USER_SGPR: 6
; COMPUTE_PGM_RSRC2:TRAP_HANDLER: 0
; COMPUTE_PGM_RSRC2:TGID_X_EN: 1
; COMPUTE_PGM_RSRC2:TGID_Y_EN: 0
; COMPUTE_PGM_RSRC2:TGID_Z_EN: 0
; COMPUTE_PGM_RSRC2:TIDIG_COMP_CNT: 0
	.text
	.p2alignl 6, 3214868480
	.fill 48, 4, 3214868480
	.type	__hip_cuid_83391e4765f33fe0,@object ; @__hip_cuid_83391e4765f33fe0
	.section	.bss,"aw",@nobits
	.globl	__hip_cuid_83391e4765f33fe0
__hip_cuid_83391e4765f33fe0:
	.byte	0                               ; 0x0
	.size	__hip_cuid_83391e4765f33fe0, 1

	.ident	"AMD clang version 19.0.0git (https://github.com/RadeonOpenCompute/llvm-project roc-6.4.0 25133 c7fe45cf4b819c5991fe208aaa96edf142730f1d)"
	.section	".note.GNU-stack","",@progbits
	.addrsig
	.addrsig_sym __hip_cuid_83391e4765f33fe0
	.amdgpu_metadata
---
amdhsa.kernels:
  - .args:
      - .actual_access:  read_only
        .address_space:  global
        .offset:         0
        .size:           8
        .value_kind:     global_buffer
      - .offset:         8
        .size:           8
        .value_kind:     by_value
      - .actual_access:  read_only
        .address_space:  global
        .offset:         16
        .size:           8
        .value_kind:     global_buffer
      - .actual_access:  read_only
        .address_space:  global
        .offset:         24
        .size:           8
        .value_kind:     global_buffer
      - .actual_access:  read_only
        .address_space:  global
        .offset:         32
        .size:           8
        .value_kind:     global_buffer
      - .offset:         40
        .size:           8
        .value_kind:     by_value
      - .actual_access:  read_only
        .address_space:  global
        .offset:         48
        .size:           8
        .value_kind:     global_buffer
      - .actual_access:  read_only
        .address_space:  global
        .offset:         56
        .size:           8
        .value_kind:     global_buffer
      - .offset:         64
        .size:           4
        .value_kind:     by_value
      - .actual_access:  read_only
        .address_space:  global
        .offset:         72
        .size:           8
        .value_kind:     global_buffer
      - .actual_access:  read_only
        .address_space:  global
        .offset:         80
        .size:           8
        .value_kind:     global_buffer
      - .actual_access:  read_only
        .address_space:  global
        .offset:         88
        .size:           8
        .value_kind:     global_buffer
      - .actual_access:  write_only
        .address_space:  global
        .offset:         96
        .size:           8
        .value_kind:     global_buffer
    .group_segment_fixed_size: 0
    .kernarg_segment_align: 8
    .kernarg_segment_size: 104
    .language:       OpenCL C
    .language_version:
      - 2
      - 0
    .max_flat_workgroup_size: 130
    .name:           fft_rtc_back_len1300_factors_10_10_13_wgs_130_tpt_130_dp_op_CI_CI_unitstride_sbrr_dirReg
    .private_segment_fixed_size: 0
    .sgpr_count:     34
    .sgpr_spill_count: 0
    .symbol:         fft_rtc_back_len1300_factors_10_10_13_wgs_130_tpt_130_dp_op_CI_CI_unitstride_sbrr_dirReg.kd
    .uniform_work_group_size: 1
    .uses_dynamic_stack: false
    .vgpr_count:     225
    .vgpr_spill_count: 0
    .wavefront_size: 32
    .workgroup_processor_mode: 1
amdhsa.target:   amdgcn-amd-amdhsa--gfx1030
amdhsa.version:
  - 1
  - 2
...

	.end_amdgpu_metadata
